;; amdgpu-corpus repo=ROCm/rocFFT kind=compiled arch=gfx950 opt=O3
	.text
	.amdgcn_target "amdgcn-amd-amdhsa--gfx950"
	.amdhsa_code_object_version 6
	.protected	fft_rtc_fwd_len100_factors_10_10_wgs_60_tpt_10_halfLds_half_op_CI_CI_unitstride_sbrr_C2R_dirReg ; -- Begin function fft_rtc_fwd_len100_factors_10_10_wgs_60_tpt_10_halfLds_half_op_CI_CI_unitstride_sbrr_C2R_dirReg
	.globl	fft_rtc_fwd_len100_factors_10_10_wgs_60_tpt_10_halfLds_half_op_CI_CI_unitstride_sbrr_C2R_dirReg
	.p2align	8
	.type	fft_rtc_fwd_len100_factors_10_10_wgs_60_tpt_10_halfLds_half_op_CI_CI_unitstride_sbrr_C2R_dirReg,@function
fft_rtc_fwd_len100_factors_10_10_wgs_60_tpt_10_halfLds_half_op_CI_CI_unitstride_sbrr_C2R_dirReg: ; @fft_rtc_fwd_len100_factors_10_10_wgs_60_tpt_10_halfLds_half_op_CI_CI_unitstride_sbrr_C2R_dirReg
; %bb.0:
	s_load_dwordx4 s[4:7], s[0:1], 0x58
	s_load_dwordx4 s[8:11], s[0:1], 0x0
	;; [unrolled: 1-line block ×3, first 2 shown]
	v_mul_u32_u24_e32 v1, 0x199a, v0
	v_lshrrev_b32_e32 v2, 16, v1
	v_mad_u64_u32 v[6:7], s[2:3], s2, 6, v[2:3]
	v_mov_b32_e32 v10, 0
	v_mov_b32_e32 v7, v10
	s_waitcnt lgkmcnt(0)
	v_cmp_lt_u64_e64 s[2:3], s[10:11], 2
	v_mov_b64_e32 v[8:9], 0
	s_and_b64 vcc, exec, s[2:3]
	v_mov_b64_e32 v[2:3], v[8:9]
	v_mov_b64_e32 v[4:5], v[6:7]
	s_cbranch_vccnz .LBB0_8
; %bb.1:
	s_load_dwordx2 s[2:3], s[0:1], 0x10
	s_add_u32 s16, s14, 8
	s_addc_u32 s17, s15, 0
	s_add_u32 s18, s12, 8
	s_addc_u32 s19, s13, 0
	s_waitcnt lgkmcnt(0)
	s_add_u32 s20, s2, 8
	v_mov_b64_e32 v[8:9], 0
	s_addc_u32 s21, s3, 0
	s_mov_b64 s[22:23], 1
	v_mov_b64_e32 v[2:3], v[8:9]
	v_mov_b64_e32 v[12:13], v[6:7]
.LBB0_2:                                ; =>This Inner Loop Header: Depth=1
	s_load_dwordx2 s[24:25], s[20:21], 0x0
                                        ; implicit-def: $vgpr4_vgpr5
	s_waitcnt lgkmcnt(0)
	v_or_b32_e32 v11, s25, v13
	v_cmp_ne_u64_e32 vcc, 0, v[10:11]
	s_and_saveexec_b64 s[2:3], vcc
	s_xor_b64 s[26:27], exec, s[2:3]
	s_cbranch_execz .LBB0_4
; %bb.3:                                ;   in Loop: Header=BB0_2 Depth=1
	v_cvt_f32_u32_e32 v1, s24
	v_cvt_f32_u32_e32 v4, s25
	s_sub_u32 s2, 0, s24
	s_subb_u32 s3, 0, s25
	v_fmac_f32_e32 v1, 0x4f800000, v4
	v_rcp_f32_e32 v1, v1
	s_nop 0
	v_mul_f32_e32 v1, 0x5f7ffffc, v1
	v_mul_f32_e32 v4, 0x2f800000, v1
	v_trunc_f32_e32 v4, v4
	v_fmac_f32_e32 v1, 0xcf800000, v4
	v_cvt_u32_f32_e32 v7, v4
	v_cvt_u32_f32_e32 v1, v1
	v_mul_lo_u32 v4, s2, v7
	v_mul_hi_u32 v11, s2, v1
	v_mul_lo_u32 v5, s3, v1
	v_add_u32_e32 v11, v11, v4
	v_mul_lo_u32 v16, s2, v1
	v_add_u32_e32 v11, v11, v5
	v_mul_hi_u32 v4, v1, v16
	v_mul_hi_u32 v15, v1, v11
	v_mul_lo_u32 v14, v1, v11
	v_mov_b32_e32 v5, v10
	v_lshl_add_u64 v[4:5], v[4:5], 0, v[14:15]
	v_mul_hi_u32 v15, v7, v16
	v_mul_lo_u32 v16, v7, v16
	v_add_co_u32_e32 v4, vcc, v4, v16
	v_mul_hi_u32 v14, v7, v11
	s_nop 0
	v_addc_co_u32_e32 v4, vcc, v5, v15, vcc
	v_mov_b32_e32 v5, v10
	s_nop 0
	v_addc_co_u32_e32 v15, vcc, 0, v14, vcc
	v_mul_lo_u32 v14, v7, v11
	v_lshl_add_u64 v[4:5], v[4:5], 0, v[14:15]
	v_add_co_u32_e32 v1, vcc, v1, v4
	v_mul_lo_u32 v14, s2, v1
	s_nop 0
	v_addc_co_u32_e32 v7, vcc, v7, v5, vcc
	v_mul_lo_u32 v4, s2, v7
	v_mul_hi_u32 v5, s2, v1
	v_add_u32_e32 v4, v5, v4
	v_mul_lo_u32 v5, s3, v1
	v_add_u32_e32 v11, v4, v5
	v_mul_hi_u32 v17, v7, v14
	v_mul_lo_u32 v18, v7, v14
	v_mul_hi_u32 v5, v1, v11
	v_mul_lo_u32 v4, v1, v11
	v_mul_hi_u32 v14, v1, v14
	v_mov_b32_e32 v15, v10
	v_lshl_add_u64 v[4:5], v[14:15], 0, v[4:5]
	v_add_co_u32_e32 v4, vcc, v4, v18
	v_mul_hi_u32 v16, v7, v11
	s_nop 0
	v_addc_co_u32_e32 v4, vcc, v5, v17, vcc
	v_mul_lo_u32 v14, v7, v11
	s_nop 0
	v_addc_co_u32_e32 v15, vcc, 0, v16, vcc
	v_mov_b32_e32 v5, v10
	v_lshl_add_u64 v[4:5], v[4:5], 0, v[14:15]
	v_add_co_u32_e32 v1, vcc, v1, v4
	v_mul_hi_u32 v14, v12, v1
	s_nop 0
	v_addc_co_u32_e32 v7, vcc, v7, v5, vcc
	v_mad_u64_u32 v[4:5], s[2:3], v12, v7, 0
	v_mov_b32_e32 v15, v10
	v_lshl_add_u64 v[4:5], v[14:15], 0, v[4:5]
	v_mad_u64_u32 v[16:17], s[2:3], v13, v1, 0
	v_add_co_u32_e32 v1, vcc, v4, v16
	v_mad_u64_u32 v[14:15], s[2:3], v13, v7, 0
	s_nop 0
	v_addc_co_u32_e32 v4, vcc, v5, v17, vcc
	v_mov_b32_e32 v5, v10
	s_nop 0
	v_addc_co_u32_e32 v15, vcc, 0, v15, vcc
	v_lshl_add_u64 v[4:5], v[4:5], 0, v[14:15]
	v_mul_lo_u32 v1, s25, v4
	v_mul_lo_u32 v7, s24, v5
	v_mad_u64_u32 v[14:15], s[2:3], s24, v4, 0
	v_add3_u32 v1, v15, v7, v1
	v_sub_u32_e32 v7, v13, v1
	v_mov_b32_e32 v11, s25
	v_sub_co_u32_e32 v18, vcc, v12, v14
	v_lshl_add_u64 v[16:17], v[4:5], 0, 1
	s_nop 0
	v_subb_co_u32_e64 v7, s[2:3], v7, v11, vcc
	v_subrev_co_u32_e64 v11, s[2:3], s24, v18
	v_subb_co_u32_e32 v1, vcc, v13, v1, vcc
	s_nop 0
	v_subbrev_co_u32_e64 v7, s[2:3], 0, v7, s[2:3]
	v_cmp_le_u32_e64 s[2:3], s25, v7
	v_cmp_le_u32_e32 vcc, s25, v1
	s_nop 0
	v_cndmask_b32_e64 v14, 0, -1, s[2:3]
	v_cmp_le_u32_e64 s[2:3], s24, v11
	s_nop 1
	v_cndmask_b32_e64 v11, 0, -1, s[2:3]
	v_cmp_eq_u32_e64 s[2:3], s25, v7
	s_nop 1
	v_cndmask_b32_e64 v7, v14, v11, s[2:3]
	v_lshl_add_u64 v[14:15], v[4:5], 0, 2
	v_cmp_ne_u32_e64 s[2:3], 0, v7
	v_cndmask_b32_e64 v11, 0, -1, vcc
	v_cmp_le_u32_e32 vcc, s24, v18
	v_cndmask_b32_e64 v7, v17, v15, s[2:3]
	s_nop 0
	v_cndmask_b32_e64 v15, 0, -1, vcc
	v_cmp_eq_u32_e32 vcc, s25, v1
	s_nop 1
	v_cndmask_b32_e32 v1, v11, v15, vcc
	v_cmp_ne_u32_e32 vcc, 0, v1
	v_cndmask_b32_e64 v1, v16, v14, s[2:3]
	s_nop 0
	v_cndmask_b32_e32 v5, v5, v7, vcc
	v_cndmask_b32_e32 v4, v4, v1, vcc
.LBB0_4:                                ;   in Loop: Header=BB0_2 Depth=1
	s_andn2_saveexec_b64 s[2:3], s[26:27]
	s_cbranch_execz .LBB0_6
; %bb.5:                                ;   in Loop: Header=BB0_2 Depth=1
	v_cvt_f32_u32_e32 v1, s24
	s_sub_i32 s26, 0, s24
	v_rcp_iflag_f32_e32 v1, v1
	s_nop 0
	v_mul_f32_e32 v1, 0x4f7ffffe, v1
	v_cvt_u32_f32_e32 v1, v1
	v_mul_lo_u32 v4, s26, v1
	v_mul_hi_u32 v4, v1, v4
	v_add_u32_e32 v1, v1, v4
	v_mul_hi_u32 v1, v12, v1
	v_mul_lo_u32 v4, v1, s24
	v_sub_u32_e32 v4, v12, v4
	v_add_u32_e32 v5, 1, v1
	v_subrev_u32_e32 v7, s24, v4
	v_cmp_le_u32_e32 vcc, s24, v4
	s_nop 1
	v_cndmask_b32_e32 v4, v4, v7, vcc
	v_cndmask_b32_e32 v1, v1, v5, vcc
	v_add_u32_e32 v5, 1, v1
	v_cmp_le_u32_e32 vcc, s24, v4
	s_nop 1
	v_cndmask_b32_e32 v4, v1, v5, vcc
	v_mov_b32_e32 v5, v10
.LBB0_6:                                ;   in Loop: Header=BB0_2 Depth=1
	s_or_b64 exec, exec, s[2:3]
	v_mad_u64_u32 v[14:15], s[2:3], v4, s24, 0
	s_load_dwordx2 s[2:3], s[18:19], 0x0
	s_add_u32 s22, s22, 1
	v_mul_lo_u32 v1, v5, s24
	v_mul_lo_u32 v7, v4, s25
	s_load_dwordx2 s[24:25], s[16:17], 0x0
	s_addc_u32 s23, s23, 0
	v_add3_u32 v1, v15, v7, v1
	v_sub_co_u32_e32 v7, vcc, v12, v14
	s_add_u32 s16, s16, 8
	s_nop 0
	v_subb_co_u32_e32 v1, vcc, v13, v1, vcc
	s_addc_u32 s17, s17, 0
	s_waitcnt lgkmcnt(0)
	v_mul_lo_u32 v11, s2, v1
	v_mul_lo_u32 v12, s3, v7
	v_mad_u64_u32 v[8:9], s[2:3], s2, v7, v[8:9]
	s_add_u32 s18, s18, 8
	v_add3_u32 v9, v12, v9, v11
	s_addc_u32 s19, s19, 0
	v_mov_b64_e32 v[12:13], s[10:11]
	v_mul_lo_u32 v1, s24, v1
	v_mul_lo_u32 v11, s25, v7
	v_mad_u64_u32 v[2:3], s[2:3], s24, v7, v[2:3]
	s_add_u32 s20, s20, 8
	v_cmp_ge_u64_e32 vcc, s[22:23], v[12:13]
	v_add3_u32 v3, v11, v3, v1
	s_addc_u32 s21, s21, 0
	s_cbranch_vccnz .LBB0_8
; %bb.7:                                ;   in Loop: Header=BB0_2 Depth=1
	v_mov_b64_e32 v[12:13], v[4:5]
	s_branch .LBB0_2
.LBB0_8:
	s_load_dwordx2 s[0:1], s[0:1], 0x28
	s_lshl_b64 s[16:17], s[10:11], 3
	s_mov_b32 s10, 0xaaaaaaab
	v_mul_hi_u32 v1, v6, s10
	v_lshrrev_b32_e32 v1, 2, v1
	s_add_u32 s2, s14, s16
	v_mul_lo_u32 v1, v1, 6
	s_addc_u32 s3, s15, s17
	v_sub_u32_e32 v1, v6, v1
	s_waitcnt lgkmcnt(0)
	v_cmp_gt_u64_e32 vcc, s[0:1], v[4:5]
	v_cmp_le_u64_e64 s[0:1], s[0:1], v[4:5]
                                        ; implicit-def: $vgpr6
	s_and_saveexec_b64 s[10:11], s[0:1]
	s_xor_b64 s[0:1], exec, s[10:11]
; %bb.9:
	s_mov_b32 s10, 0x1999999a
	v_mul_hi_u32 v6, v0, s10
	v_mul_u32_u24_e32 v6, 10, v6
	v_sub_u32_e32 v6, v0, v6
                                        ; implicit-def: $vgpr0
                                        ; implicit-def: $vgpr8_vgpr9
; %bb.10:
	s_or_saveexec_b64 s[10:11], s[0:1]
	s_load_dwordx2 s[2:3], s[2:3], 0x0
	v_mul_u32_u24_e32 v7, 0x65, v1
	v_lshlrev_b32_e32 v10, 2, v7
	s_xor_b64 exec, exec, s[10:11]
	s_cbranch_execz .LBB0_14
; %bb.11:
	s_add_u32 s0, s12, s16
	s_addc_u32 s1, s13, s17
	s_load_dwordx2 s[0:1], s[0:1], 0x0
	s_mov_b32 s12, 0x1999999a
	s_waitcnt lgkmcnt(0)
	v_mul_lo_u32 v1, s1, v4
	v_mul_lo_u32 v6, s0, v5
	v_mad_u64_u32 v[12:13], s[0:1], s0, v4, 0
	v_add3_u32 v13, v13, v6, v1
	v_mul_hi_u32 v1, v0, s12
	v_mul_u32_u24_e32 v1, 10, v1
	v_sub_u32_e32 v6, v0, v1
	v_lshl_add_u64 v[0:1], v[12:13], 2, s[4:5]
	v_lshl_add_u64 v[0:1], v[8:9], 2, v[0:1]
	v_lshlrev_b32_e32 v8, 2, v6
	v_mov_b32_e32 v9, 0
	v_lshl_add_u64 v[12:13], v[0:1], 0, v[8:9]
	global_load_dword v9, v[12:13], off
	global_load_dword v11, v[12:13], off offset:40
	global_load_dword v14, v[12:13], off offset:80
	;; [unrolled: 1-line block ×9, first 2 shown]
	v_add3_u32 v8, 0, v10, v8
	v_cmp_eq_u32_e64 s[0:1], 9, v6
	s_waitcnt vmcnt(8)
	ds_write2_b32 v8, v9, v11 offset1:10
	s_waitcnt vmcnt(6)
	ds_write2_b32 v8, v14, v15 offset0:20 offset1:30
	s_waitcnt vmcnt(4)
	ds_write2_b32 v8, v16, v17 offset0:40 offset1:50
	;; [unrolled: 2-line block ×4, first 2 shown]
	s_and_saveexec_b64 s[4:5], s[0:1]
	s_cbranch_execz .LBB0_13
; %bb.12:
	global_load_dword v0, v[0:1], off offset:400
	v_mov_b32_e32 v6, 9
	s_waitcnt vmcnt(0)
	ds_write_b32 v8, v0 offset:364
.LBB0_13:
	s_or_b64 exec, exec, s[4:5]
.LBB0_14:
	s_or_b64 exec, exec, s[10:11]
	v_lshl_add_u32 v8, v7, 2, 0
	v_lshlrev_b32_e32 v12, 2, v6
	v_add_u32_e32 v9, v8, v12
	s_waitcnt lgkmcnt(0)
	; wave barrier
	s_waitcnt lgkmcnt(0)
	v_sub_u32_e32 v11, v8, v12
	ds_read_u16 v15, v9
	ds_read_u16 v16, v11 offset:400
	v_cmp_ne_u32_e64 s[0:1], 0, v6
                                        ; implicit-def: $vgpr0_vgpr1
	s_waitcnt lgkmcnt(0)
	v_add_f16_e32 v13, v16, v15
	v_sub_f16_e32 v14, v15, v16
	s_and_saveexec_b64 s[4:5], s[0:1]
	s_xor_b64 s[0:1], exec, s[4:5]
	s_cbranch_execz .LBB0_16
; %bb.15:
	v_mov_b32_e32 v7, 0
	v_lshl_add_u64 v[0:1], v[6:7], 2, s[8:9]
	global_load_dword v0, v[0:1], off offset:360
	ds_read_u16 v1, v11 offset:402
	ds_read_u16 v13, v9 offset:2
	v_add_f16_e32 v14, v16, v15
	v_sub_f16_e32 v15, v15, v16
	s_waitcnt lgkmcnt(0)
	v_add_f16_e32 v16, v1, v13
	v_sub_f16_e32 v1, v13, v1
	s_waitcnt vmcnt(0)
	v_lshrrev_b32_e32 v13, 16, v0
	v_fma_f16 v17, v15, v13, v14
	v_fma_f16 v18, v16, v13, v1
	v_fma_f16 v19, -v15, v13, v14
	v_fma_f16 v1, v16, v13, -v1
	v_fma_f16 v13, -v0, v16, v17
	v_fma_f16 v14, v15, v0, v18
	v_fma_f16 v16, v0, v16, v19
	;; [unrolled: 1-line block ×3, first 2 shown]
	v_pack_b32_f16 v0, v16, v0
	ds_write_b32 v11, v0 offset:400
	v_mov_b64_e32 v[0:1], v[6:7]
.LBB0_16:
	s_andn2_saveexec_b64 s[0:1], s[0:1]
	s_cbranch_execz .LBB0_18
; %bb.17:
	ds_read_b32 v0, v8 offset:200
	s_mov_b32 s4, 0xc0004000
	s_waitcnt lgkmcnt(0)
	v_pk_mul_f16 v0, v0, s4
	ds_write_b32 v8, v0 offset:200
	v_mov_b64_e32 v[0:1], 0
.LBB0_18:
	s_or_b64 exec, exec, s[0:1]
	s_add_u32 s0, s8, 0x168
	s_addc_u32 s1, s9, 0
	v_lshl_add_u64 v[0:1], v[0:1], 2, s[0:1]
	global_load_dword v7, v[0:1], off offset:40
	global_load_dword v15, v[0:1], off offset:80
	;; [unrolled: 1-line block ×4, first 2 shown]
	s_mov_b32 s0, 0x5040100
	v_perm_b32 v0, v14, v13, s0
	ds_write_b32 v9, v0
	ds_read_b32 v0, v9 offset:40
	ds_read_b32 v1, v11 offset:360
	s_movk_i32 s0, 0x3b9c
	s_mov_b32 s5, 0xbb9c
	s_movk_i32 s1, 0x38b4
	s_mov_b32 s4, 0xb8b4
	s_waitcnt lgkmcnt(0)
	v_add_f16_e32 v13, v0, v1
	v_add_f16_sdwa v14, v1, v0 dst_sel:DWORD dst_unused:UNUSED_PAD src0_sel:WORD_1 src1_sel:WORD_1
	v_sub_f16_e32 v18, v0, v1
	v_sub_f16_sdwa v0, v0, v1 dst_sel:DWORD dst_unused:UNUSED_PAD src0_sel:WORD_1 src1_sel:WORD_1
	s_movk_i32 s10, 0x34f2
	s_movk_i32 s11, 0x3a79
	s_waitcnt vmcnt(3)
	v_lshrrev_b32_e32 v1, 16, v7
	v_fma_f16 v19, v18, v1, v13
	v_fma_f16 v20, v14, v1, v0
	v_fma_f16 v13, -v18, v1, v13
	v_fma_f16 v0, v14, v1, -v0
	v_fma_f16 v1, -v7, v14, v19
	v_fma_f16 v19, v18, v7, v20
	v_fma_f16 v13, v7, v14, v13
	v_fma_f16 v0, v18, v7, v0
	v_pack_b32_f16 v1, v1, v19
	v_pack_b32_f16 v0, v13, v0
	ds_write_b32 v9, v1 offset:40
	ds_write_b32 v11, v0 offset:360
	ds_read_b32 v0, v9 offset:80
	ds_read_b32 v1, v11 offset:320
	s_waitcnt vmcnt(2)
	v_lshrrev_b32_e32 v7, 16, v15
	s_waitcnt lgkmcnt(0)
	v_add_f16_e32 v13, v0, v1
	v_add_f16_sdwa v14, v1, v0 dst_sel:DWORD dst_unused:UNUSED_PAD src0_sel:WORD_1 src1_sel:WORD_1
	v_sub_f16_e32 v18, v0, v1
	v_sub_f16_sdwa v0, v0, v1 dst_sel:DWORD dst_unused:UNUSED_PAD src0_sel:WORD_1 src1_sel:WORD_1
	v_fma_f16 v1, v18, v7, v13
	v_fma_f16 v19, v14, v7, v0
	v_fma_f16 v13, -v18, v7, v13
	v_fma_f16 v0, v14, v7, -v0
	v_fma_f16 v1, -v15, v14, v1
	v_fma_f16 v7, v18, v15, v19
	v_fma_f16 v13, v15, v14, v13
	v_fma_f16 v0, v18, v15, v0
	v_pack_b32_f16 v1, v1, v7
	v_pack_b32_f16 v0, v13, v0
	ds_write_b32 v9, v1 offset:80
	ds_write_b32 v11, v0 offset:320
	ds_read_b32 v1, v9 offset:120
	ds_read_b32 v7, v11 offset:280
	v_add3_u32 v0, 0, v12, v10
	s_waitcnt vmcnt(1)
	v_lshrrev_b32_e32 v10, 16, v16
	s_waitcnt lgkmcnt(0)
	v_add_f16_e32 v12, v1, v7
	v_add_f16_sdwa v13, v7, v1 dst_sel:DWORD dst_unused:UNUSED_PAD src0_sel:WORD_1 src1_sel:WORD_1
	v_sub_f16_e32 v14, v1, v7
	v_sub_f16_sdwa v1, v1, v7 dst_sel:DWORD dst_unused:UNUSED_PAD src0_sel:WORD_1 src1_sel:WORD_1
	v_fma_f16 v7, v14, v10, v12
	v_fma_f16 v15, v13, v10, v1
	v_fma_f16 v12, -v14, v10, v12
	v_fma_f16 v1, v13, v10, -v1
	v_fma_f16 v7, -v16, v13, v7
	v_fma_f16 v10, v14, v16, v15
	v_fma_f16 v12, v16, v13, v12
	;; [unrolled: 1-line block ×3, first 2 shown]
	v_pack_b32_f16 v7, v7, v10
	v_pack_b32_f16 v1, v12, v1
	ds_write_b32 v9, v7 offset:120
	ds_write_b32 v11, v1 offset:280
	ds_read_b32 v1, v9 offset:160
	ds_read_b32 v7, v11 offset:240
	s_waitcnt vmcnt(0)
	v_lshrrev_b32_e32 v10, 16, v17
	s_waitcnt lgkmcnt(0)
	v_add_f16_e32 v12, v1, v7
	v_add_f16_sdwa v13, v7, v1 dst_sel:DWORD dst_unused:UNUSED_PAD src0_sel:WORD_1 src1_sel:WORD_1
	v_sub_f16_e32 v14, v1, v7
	v_sub_f16_sdwa v1, v1, v7 dst_sel:DWORD dst_unused:UNUSED_PAD src0_sel:WORD_1 src1_sel:WORD_1
	v_fma_f16 v7, v14, v10, v12
	v_fma_f16 v15, v13, v10, v1
	v_fma_f16 v12, -v14, v10, v12
	v_fma_f16 v1, v13, v10, -v1
	v_fma_f16 v7, -v17, v13, v7
	v_fma_f16 v10, v14, v17, v15
	v_fma_f16 v12, v17, v13, v12
	;; [unrolled: 1-line block ×3, first 2 shown]
	v_pack_b32_f16 v7, v7, v10
	v_pack_b32_f16 v1, v12, v1
	ds_write_b32 v9, v7 offset:160
	ds_write_b32 v11, v1 offset:240
	s_waitcnt lgkmcnt(0)
	; wave barrier
	s_waitcnt lgkmcnt(0)
	s_waitcnt lgkmcnt(0)
	; wave barrier
	s_waitcnt lgkmcnt(0)
	ds_read2_b32 v[10:11], v0 offset0:10 offset1:20
	ds_read2_b32 v[12:13], v0 offset0:30 offset1:40
	;; [unrolled: 1-line block ×4, first 2 shown]
	ds_read_b32 v7, v9
	ds_read_b32 v18, v0 offset:360
	v_mad_u32_u24 v1, v6, 36, v0
	s_waitcnt lgkmcnt(4)
	v_sub_f16_e32 v23, v11, v13
	s_waitcnt lgkmcnt(3)
	v_add_f16_e32 v19, v13, v15
	s_waitcnt lgkmcnt(2)
	v_sub_f16_e32 v22, v17, v15
	v_add_f16_e32 v24, v11, v17
	v_sub_f16_sdwa v20, v11, v17 dst_sel:DWORD dst_unused:UNUSED_PAD src0_sel:WORD_1 src1_sel:WORD_1
	v_sub_f16_sdwa v21, v13, v15 dst_sel:DWORD dst_unused:UNUSED_PAD src0_sel:WORD_1 src1_sel:WORD_1
	v_sub_f16_e32 v25, v15, v17
	v_sub_f16_e32 v26, v13, v11
	s_waitcnt lgkmcnt(1)
	v_fma_f16 v19, v19, -0.5, v7
	v_add_f16_e32 v22, v23, v22
	v_fma_f16 v23, v24, -0.5, v7
	v_add_f16_e32 v24, v26, v25
	v_fma_f16 v25, v20, s0, v19
	v_fma_f16 v19, v20, s5, v19
	;; [unrolled: 1-line block ×12, first 2 shown]
	v_pk_add_f16 v22, v7, v11
	v_add_f16_sdwa v24, v13, v15 dst_sel:DWORD dst_unused:UNUSED_PAD src0_sel:WORD_1 src1_sel:WORD_1
	v_lshrrev_b32_e32 v7, 16, v7
	v_fma_f16 v24, v24, -0.5, v7
	v_sub_f16_e32 v25, v11, v17
	v_fma_f16 v26, v25, s5, v24
	v_sub_f16_e32 v27, v13, v15
	v_sub_f16_sdwa v28, v11, v13 dst_sel:DWORD dst_unused:UNUSED_PAD src0_sel:WORD_1 src1_sel:WORD_1
	v_sub_f16_sdwa v29, v17, v15 dst_sel:DWORD dst_unused:UNUSED_PAD src0_sel:WORD_1 src1_sel:WORD_1
	v_fma_f16 v24, v25, s0, v24
	v_fma_f16 v26, v27, s4, v26
	v_add_f16_e32 v28, v28, v29
	v_fma_f16 v24, v27, s1, v24
	v_fma_f16 v26, v28, s10, v26
	;; [unrolled: 1-line block ×3, first 2 shown]
	v_add_f16_sdwa v28, v11, v17 dst_sel:DWORD dst_unused:UNUSED_PAD src0_sel:WORD_1 src1_sel:WORD_1
	v_fma_f16 v7, v28, -0.5, v7
	v_pk_add_f16 v22, v22, v13
	v_fma_f16 v28, v27, s0, v7
	v_sub_f16_sdwa v11, v13, v11 dst_sel:DWORD dst_unused:UNUSED_PAD src0_sel:WORD_1 src1_sel:WORD_1
	v_sub_f16_sdwa v13, v15, v17 dst_sel:DWORD dst_unused:UNUSED_PAD src0_sel:WORD_1 src1_sel:WORD_1
	v_fma_f16 v7, v27, s5, v7
	v_fma_f16 v28, v25, s4, v28
	v_add_f16_e32 v11, v11, v13
	v_fma_f16 v7, v25, s1, v7
	v_fma_f16 v13, v11, s10, v28
	;; [unrolled: 1-line block ×3, first 2 shown]
	v_add_f16_e32 v11, v14, v16
	v_pk_add_f16 v22, v22, v15
	v_fma_f16 v11, v11, -0.5, v10
	s_waitcnt lgkmcnt(0)
	v_sub_f16_sdwa v15, v12, v18 dst_sel:DWORD dst_unused:UNUSED_PAD src0_sel:WORD_1 src1_sel:WORD_1
	v_pk_add_f16 v22, v22, v17
	v_fma_f16 v17, v15, s0, v11
	v_sub_f16_sdwa v25, v14, v16 dst_sel:DWORD dst_unused:UNUSED_PAD src0_sel:WORD_1 src1_sel:WORD_1
	v_sub_f16_e32 v27, v18, v16
	v_sub_f16_e32 v28, v12, v14
	v_fma_f16 v11, v15, s5, v11
	v_fma_f16 v17, v25, s1, v17
	v_add_f16_e32 v27, v28, v27
	v_fma_f16 v11, v25, s4, v11
	v_fma_f16 v17, v27, s10, v17
	;; [unrolled: 1-line block ×3, first 2 shown]
	v_add_f16_e32 v27, v12, v18
	v_fma_f16 v27, v27, -0.5, v10
	v_fma_f16 v28, v25, s5, v27
	v_sub_f16_e32 v29, v16, v18
	v_sub_f16_e32 v30, v14, v12
	v_fma_f16 v25, v25, s0, v27
	v_fma_f16 v28, v15, s1, v28
	v_add_f16_e32 v29, v30, v29
	v_fma_f16 v15, v15, s4, v25
	v_pk_add_f16 v25, v10, v12
	v_add_f16_sdwa v27, v14, v16 dst_sel:DWORD dst_unused:UNUSED_PAD src0_sel:WORD_1 src1_sel:WORD_1
	v_lshrrev_b32_e32 v10, 16, v10
	v_fma_f16 v28, v29, s10, v28
	v_fma_f16 v15, v29, s10, v15
	v_fma_f16 v27, v27, -0.5, v10
	v_sub_f16_e32 v29, v12, v18
	v_fma_f16 v30, v29, s5, v27
	v_sub_f16_e32 v31, v14, v16
	v_sub_f16_sdwa v32, v12, v14 dst_sel:DWORD dst_unused:UNUSED_PAD src0_sel:WORD_1 src1_sel:WORD_1
	v_sub_f16_sdwa v33, v18, v16 dst_sel:DWORD dst_unused:UNUSED_PAD src0_sel:WORD_1 src1_sel:WORD_1
	v_fma_f16 v27, v29, s0, v27
	v_fma_f16 v30, v31, s4, v30
	v_add_f16_e32 v32, v32, v33
	v_fma_f16 v27, v31, s1, v27
	v_fma_f16 v30, v32, s10, v30
	;; [unrolled: 1-line block ×3, first 2 shown]
	v_add_f16_sdwa v32, v12, v18 dst_sel:DWORD dst_unused:UNUSED_PAD src0_sel:WORD_1 src1_sel:WORD_1
	v_fma_f16 v10, v32, -0.5, v10
	v_pk_add_f16 v25, v25, v14
	v_fma_f16 v32, v31, s0, v10
	v_sub_f16_sdwa v12, v14, v12 dst_sel:DWORD dst_unused:UNUSED_PAD src0_sel:WORD_1 src1_sel:WORD_1
	v_sub_f16_sdwa v14, v16, v18 dst_sel:DWORD dst_unused:UNUSED_PAD src0_sel:WORD_1 src1_sel:WORD_1
	v_fma_f16 v32, v29, s4, v32
	v_add_f16_e32 v12, v12, v14
	v_fma_f16 v10, v31, s5, v10
	v_pk_add_f16 v25, v25, v16
	v_fma_f16 v14, v12, s10, v32
	v_fma_f16 v10, v29, s1, v10
	v_pk_add_f16 v25, v25, v18
	v_fma_f16 v10, v12, s10, v10
	v_mul_f16_e32 v12, 0x3a79, v17
	v_mul_f16_e32 v18, 0x3b9c, v14
	;; [unrolled: 1-line block ×5, first 2 shown]
	v_fma_f16 v12, v30, s1, v12
	v_fma_f16 v18, v28, s10, v18
	v_fma_f16 v31, v10, s0, -v31
	v_fma_f16 v33, v27, s1, -v33
	v_fma_f16 v17, v30, s11, v17
	v_mul_f16_e32 v28, 0xbb9c, v28
	v_mul_f16_e32 v10, 0x34f2, v10
	;; [unrolled: 1-line block ×3, first 2 shown]
	v_add_f16_e32 v16, v23, v12
	v_add_f16_e32 v30, v26, v17
	v_fma_f16 v14, v14, s10, v28
	v_fma_f16 v10, v15, s5, -v10
	v_fma_f16 v11, v11, s4, -v27
	v_add_f16_e32 v29, v21, v18
	v_add_f16_e32 v32, v20, v31
	v_pk_add_f16 v35, v22, v25
	v_add_f16_e32 v28, v13, v14
	v_add_f16_e32 v15, v7, v10
	;; [unrolled: 1-line block ×3, first 2 shown]
	v_sub_f16_e32 v7, v7, v10
	v_sub_f16_e32 v10, v24, v11
	v_pack_b32_f16 v11, v16, v30
	v_add_f16_e32 v34, v19, v33
	v_sub_f16_e32 v13, v13, v14
	s_waitcnt lgkmcnt(0)
	; wave barrier
	ds_write2_b32 v1, v35, v11 offset1:1
	v_pack_b32_f16 v11, v32, v15
	v_pack_b32_f16 v14, v29, v28
	v_sub_f16_e32 v12, v23, v12
	v_sub_f16_e32 v18, v21, v18
	;; [unrolled: 1-line block ×5, first 2 shown]
	ds_write2_b32 v1, v14, v11 offset0:2 offset1:3
	v_pk_add_f16 v11, v22, v25 neg_lo:[0,1] neg_hi:[0,1]
	v_pack_b32_f16 v14, v34, v27
	ds_write2_b32 v1, v14, v11 offset0:4 offset1:5
	v_pack_b32_f16 v11, v12, v17
	v_pack_b32_f16 v12, v18, v13
	;; [unrolled: 1-line block ×4, first 2 shown]
	ds_write2_b32 v1, v11, v12 offset0:6 offset1:7
	ds_write2_b32 v1, v7, v10 offset0:8 offset1:9
	v_mul_u32_u24_e32 v1, 9, v6
	v_lshlrev_b32_e32 v1, 2, v1
	s_waitcnt lgkmcnt(0)
	; wave barrier
	s_waitcnt lgkmcnt(0)
	global_load_dwordx4 v[10:13], v1, s[8:9]
	global_load_dwordx4 v[14:17], v1, s[8:9] offset:16
	global_load_dword v7, v1, s[8:9] offset:32
	ds_read_b32 v1, v9
	ds_read2_b32 v[18:19], v0 offset0:50 offset1:60
	ds_read2_b32 v[20:21], v0 offset0:70 offset1:80
	ds_read_b32 v9, v0 offset:360
	ds_read2_b32 v[22:23], v0 offset0:10 offset1:20
	ds_read2_b32 v[24:25], v0 offset0:30 offset1:40
	s_waitcnt lgkmcnt(5)
	v_lshrrev_b32_e32 v26, 16, v1
	s_waitcnt lgkmcnt(4)
	v_lshrrev_b32_e32 v27, 16, v19
	;; [unrolled: 2-line block ×4, first 2 shown]
	v_lshrrev_b32_e32 v29, 16, v21
	v_lshrrev_b32_e32 v30, 16, v9
	s_waitcnt lgkmcnt(0)
	; wave barrier
	s_waitcnt vmcnt(2) lgkmcnt(0)
	v_mul_f16_sdwa v32, v10, v31 dst_sel:DWORD dst_unused:UNUSED_PAD src0_sel:WORD_1 src1_sel:DWORD
	v_fma_f16 v32, v10, v22, -v32
	v_mul_f16_sdwa v22, v10, v22 dst_sel:DWORD dst_unused:UNUSED_PAD src0_sel:WORD_1 src1_sel:DWORD
	v_fma_f16 v10, v10, v31, v22
	v_lshrrev_b32_e32 v22, 16, v23
	v_mul_f16_sdwa v31, v11, v22 dst_sel:DWORD dst_unused:UNUSED_PAD src0_sel:WORD_1 src1_sel:DWORD
	v_fma_f16 v31, v11, v23, -v31
	v_mul_f16_sdwa v23, v11, v23 dst_sel:DWORD dst_unused:UNUSED_PAD src0_sel:WORD_1 src1_sel:DWORD
	v_fma_f16 v11, v11, v22, v23
	v_lshrrev_b32_e32 v22, 16, v24
	;; [unrolled: 5-line block ×4, first 2 shown]
	s_waitcnt vmcnt(1)
	v_mul_f16_sdwa v25, v14, v22 dst_sel:DWORD dst_unused:UNUSED_PAD src0_sel:WORD_1 src1_sel:DWORD
	v_fma_f16 v25, v14, v18, -v25
	v_mul_f16_sdwa v18, v14, v18 dst_sel:DWORD dst_unused:UNUSED_PAD src0_sel:WORD_1 src1_sel:DWORD
	v_fma_f16 v14, v14, v22, v18
	v_mul_f16_sdwa v18, v27, v15 dst_sel:DWORD dst_unused:UNUSED_PAD src0_sel:DWORD src1_sel:WORD_1
	v_fma_f16 v18, v19, v15, -v18
	v_mul_f16_sdwa v19, v19, v15 dst_sel:DWORD dst_unused:UNUSED_PAD src0_sel:DWORD src1_sel:WORD_1
	v_fma_f16 v15, v27, v15, v19
	v_mul_f16_sdwa v19, v28, v16 dst_sel:DWORD dst_unused:UNUSED_PAD src0_sel:DWORD src1_sel:WORD_1
	v_fma_f16 v19, v20, v16, -v19
	v_mul_f16_sdwa v20, v20, v16 dst_sel:DWORD dst_unused:UNUSED_PAD src0_sel:DWORD src1_sel:WORD_1
	;; [unrolled: 4-line block ×3, first 2 shown]
	v_fma_f16 v17, v29, v17, v21
	s_waitcnt vmcnt(0)
	v_mul_f16_sdwa v21, v30, v7 dst_sel:DWORD dst_unused:UNUSED_PAD src0_sel:DWORD src1_sel:WORD_1
	v_add_f16_e32 v22, v24, v18
	v_fma_f16 v21, v9, v7, -v21
	v_mul_f16_sdwa v9, v9, v7 dst_sel:DWORD dst_unused:UNUSED_PAD src0_sel:DWORD src1_sel:WORD_1
	v_fma_f16 v22, v22, -0.5, v1
	v_sub_f16_e32 v27, v11, v17
	v_fma_f16 v7, v30, v7, v9
	v_fma_f16 v28, v27, s0, v22
	v_sub_f16_e32 v29, v13, v15
	v_sub_f16_e32 v30, v31, v24
	;; [unrolled: 1-line block ×3, first 2 shown]
	v_fma_f16 v22, v27, s5, v22
	v_fma_f16 v28, v29, s1, v28
	v_add_f16_e32 v30, v30, v33
	v_fma_f16 v22, v29, s4, v22
	v_add_f16_e32 v9, v1, v31
	v_fma_f16 v28, v30, s10, v28
	v_fma_f16 v22, v30, s10, v22
	v_add_f16_e32 v30, v31, v20
	v_add_f16_e32 v9, v9, v24
	v_fma_f16 v1, v30, -0.5, v1
	v_add_f16_e32 v9, v9, v18
	v_fma_f16 v30, v29, s5, v1
	v_fma_f16 v1, v29, s0, v1
	v_add_f16_e32 v29, v13, v15
	v_add_f16_e32 v9, v9, v20
	v_sub_f16_e32 v33, v24, v31
	v_sub_f16_e32 v34, v18, v20
	v_fma_f16 v29, v29, -0.5, v26
	v_sub_f16_e32 v20, v31, v20
	v_fma_f16 v30, v27, s1, v30
	v_add_f16_e32 v33, v33, v34
	v_fma_f16 v1, v27, s4, v1
	v_fma_f16 v31, v20, s5, v29
	v_sub_f16_e32 v18, v24, v18
	v_fma_f16 v30, v33, s10, v30
	v_fma_f16 v1, v33, s10, v1
	;; [unrolled: 1-line block ×3, first 2 shown]
	v_sub_f16_e32 v31, v11, v13
	v_sub_f16_e32 v33, v17, v15
	v_fma_f16 v29, v20, s0, v29
	v_add_f16_e32 v27, v26, v11
	v_add_f16_e32 v31, v31, v33
	v_fma_f16 v29, v18, s1, v29
	v_add_f16_e32 v27, v27, v13
	v_fma_f16 v24, v31, s10, v24
	v_fma_f16 v29, v31, s10, v29
	v_add_f16_e32 v31, v11, v17
	v_add_f16_e32 v27, v27, v15
	v_fma_f16 v26, v31, -0.5, v26
	v_add_f16_e32 v27, v27, v17
	v_fma_f16 v31, v18, s0, v26
	v_sub_f16_e32 v11, v13, v11
	v_sub_f16_e32 v13, v15, v17
	v_add_f16_e32 v17, v25, v19
	v_fma_f16 v31, v20, s4, v31
	v_add_f16_e32 v11, v11, v13
	v_fma_f16 v15, v18, s5, v26
	v_fma_f16 v17, v17, -0.5, v32
	v_sub_f16_e32 v18, v12, v7
	v_fma_f16 v13, v11, s10, v31
	v_fma_f16 v15, v20, s1, v15
	;; [unrolled: 1-line block ×3, first 2 shown]
	v_sub_f16_e32 v26, v14, v16
	v_sub_f16_e32 v31, v23, v25
	;; [unrolled: 1-line block ×3, first 2 shown]
	v_fma_f16 v17, v18, s5, v17
	v_fma_f16 v20, v26, s1, v20
	v_add_f16_e32 v31, v31, v33
	v_fma_f16 v17, v26, s4, v17
	v_fma_f16 v11, v11, s10, v15
	v_add_f16_e32 v15, v32, v23
	;; [unrolled: 3-line block ×3, first 2 shown]
	v_add_f16_e32 v15, v15, v25
	v_fma_f16 v31, v31, -0.5, v32
	v_add_f16_e32 v15, v15, v19
	v_fma_f16 v32, v26, s5, v31
	v_sub_f16_e32 v33, v25, v23
	v_sub_f16_e32 v34, v19, v21
	v_fma_f16 v26, v26, s0, v31
	v_add_f16_e32 v31, v14, v16
	v_add_f16_e32 v15, v15, v21
	v_fma_f16 v32, v18, s1, v32
	v_add_f16_e32 v33, v33, v34
	v_fma_f16 v18, v18, s4, v26
	v_fma_f16 v31, v31, -0.5, v10
	v_sub_f16_e32 v21, v23, v21
	v_fma_f16 v32, v33, s10, v32
	v_fma_f16 v18, v33, s10, v18
	;; [unrolled: 1-line block ×3, first 2 shown]
	v_sub_f16_e32 v19, v25, v19
	v_sub_f16_e32 v25, v12, v14
	;; [unrolled: 1-line block ×3, first 2 shown]
	v_fma_f16 v31, v21, s0, v31
	v_add_f16_e32 v26, v10, v12
	v_fma_f16 v23, v19, s4, v23
	v_add_f16_e32 v25, v25, v33
	v_fma_f16 v31, v19, s1, v31
	v_add_f16_e32 v26, v26, v14
	v_fma_f16 v23, v25, s10, v23
	v_fma_f16 v25, v25, s10, v31
	v_add_f16_e32 v31, v12, v7
	v_add_f16_e32 v26, v26, v16
	v_fma_f16 v10, v31, -0.5, v10
	v_add_f16_e32 v26, v26, v7
	v_fma_f16 v31, v19, s0, v10
	v_sub_f16_e32 v12, v14, v12
	v_sub_f16_e32 v7, v16, v7
	v_fma_f16 v31, v21, s4, v31
	v_add_f16_e32 v7, v12, v7
	v_fma_f16 v10, v19, s5, v10
	v_fma_f16 v12, v7, s10, v31
	;; [unrolled: 1-line block ×3, first 2 shown]
	v_mul_f16_e32 v14, 0x38b4, v23
	v_fma_f16 v7, v7, s10, v10
	v_fma_f16 v14, v20, s11, v14
	v_mul_f16_e32 v19, 0x3b9c, v12
	v_mul_f16_e32 v31, 0x34f2, v18
	;; [unrolled: 1-line block ×3, first 2 shown]
	v_fma_f16 v19, v32, s10, v19
	v_fma_f16 v31, v7, s0, -v31
	v_mul_f16_e32 v34, 0x3a79, v17
	v_fma_f16 v20, v23, s11, v20
	v_mul_f16_e32 v32, 0xbb9c, v32
	v_mul_f16_e32 v7, 0x34f2, v7
	v_add_f16_e32 v10, v9, v15
	v_add_f16_e32 v16, v28, v14
	v_fma_f16 v34, v25, s1, -v34
	v_add_f16_e32 v36, v27, v26
	v_add_f16_e32 v23, v24, v20
	v_fma_f16 v12, v12, s10, v32
	v_fma_f16 v7, v18, s5, -v7
	v_mul_f16_e32 v25, 0x3a79, v25
	v_add_f16_e32 v21, v30, v19
	v_add_f16_e32 v33, v1, v31
	;; [unrolled: 1-line block ×4, first 2 shown]
	v_fma_f16 v17, v17, s4, -v25
	v_sub_f16_e32 v12, v13, v12
	v_pack_b32_f16 v10, v10, v36
	v_pack_b32_f16 v13, v16, v23
	v_add_f16_e32 v35, v22, v34
	v_add_f16_e32 v25, v29, v17
	v_sub_f16_e32 v9, v9, v15
	v_sub_f16_e32 v15, v30, v19
	;; [unrolled: 1-line block ×4, first 2 shown]
	ds_write2_b32 v0, v10, v13 offset1:10
	v_pack_b32_f16 v10, v21, v32
	v_pack_b32_f16 v13, v33, v18
	v_sub_f16_e32 v14, v28, v14
	v_sub_f16_e32 v1, v1, v31
	;; [unrolled: 1-line block ×5, first 2 shown]
	ds_write2_b32 v0, v10, v13 offset0:20 offset1:30
	v_pack_b32_f16 v10, v35, v25
	v_pack_b32_f16 v9, v9, v22
	ds_write2_b32 v0, v10, v9 offset0:40 offset1:50
	v_pack_b32_f16 v9, v14, v20
	v_pack_b32_f16 v10, v15, v12
	;; [unrolled: 1-line block ×4, first 2 shown]
	ds_write2_b32 v0, v9, v10 offset0:60 offset1:70
	ds_write2_b32 v0, v1, v7 offset0:80 offset1:90
	s_waitcnt lgkmcnt(0)
	; wave barrier
	s_waitcnt lgkmcnt(0)
	s_and_saveexec_b64 s[0:1], vcc
	s_cbranch_execz .LBB0_20
; %bb.19:
	v_mul_lo_u32 v7, s3, v4
	v_mul_lo_u32 v5, s2, v5
	v_mad_u64_u32 v[0:1], s[0:1], s2, v4, 0
	v_lshl_add_u32 v10, v6, 2, v8
	v_add3_u32 v1, v1, v5, v7
	ds_read2_b32 v[4:5], v10 offset1:10
	v_lshl_add_u64 v[0:1], v[0:1], 2, s[6:7]
	v_mov_b32_e32 v7, 0
	v_lshl_add_u64 v[0:1], v[2:3], 2, v[0:1]
	v_lshl_add_u64 v[2:3], v[6:7], 2, v[0:1]
	ds_read2_b32 v[8:9], v10 offset0:20 offset1:30
	s_waitcnt lgkmcnt(1)
	global_store_dword v[2:3], v4, off
	v_add_u32_e32 v2, 10, v6
	v_mov_b32_e32 v3, v7
	v_lshl_add_u64 v[2:3], v[2:3], 2, v[0:1]
	global_store_dword v[2:3], v5, off
	v_add_u32_e32 v2, 20, v6
	v_mov_b32_e32 v3, v7
	v_lshl_add_u64 v[2:3], v[2:3], 2, v[0:1]
	ds_read2_b32 v[4:5], v10 offset0:40 offset1:50
	s_waitcnt lgkmcnt(1)
	global_store_dword v[2:3], v8, off
	v_add_u32_e32 v2, 30, v6
	v_mov_b32_e32 v3, v7
	v_lshl_add_u64 v[2:3], v[2:3], 2, v[0:1]
	global_store_dword v[2:3], v9, off
	v_add_u32_e32 v2, 40, v6
	v_mov_b32_e32 v3, v7
	;; [unrolled: 10-line block ×4, first 2 shown]
	v_add_u32_e32 v6, 0x5a, v6
	v_lshl_add_u64 v[2:3], v[2:3], 2, v[0:1]
	v_lshl_add_u64 v[0:1], v[6:7], 2, v[0:1]
	s_waitcnt lgkmcnt(0)
	global_store_dword v[2:3], v4, off
	global_store_dword v[0:1], v5, off
.LBB0_20:
	s_endpgm
	.section	.rodata,"a",@progbits
	.p2align	6, 0x0
	.amdhsa_kernel fft_rtc_fwd_len100_factors_10_10_wgs_60_tpt_10_halfLds_half_op_CI_CI_unitstride_sbrr_C2R_dirReg
		.amdhsa_group_segment_fixed_size 0
		.amdhsa_private_segment_fixed_size 0
		.amdhsa_kernarg_size 104
		.amdhsa_user_sgpr_count 2
		.amdhsa_user_sgpr_dispatch_ptr 0
		.amdhsa_user_sgpr_queue_ptr 0
		.amdhsa_user_sgpr_kernarg_segment_ptr 1
		.amdhsa_user_sgpr_dispatch_id 0
		.amdhsa_user_sgpr_kernarg_preload_length 0
		.amdhsa_user_sgpr_kernarg_preload_offset 0
		.amdhsa_user_sgpr_private_segment_size 0
		.amdhsa_uses_dynamic_stack 0
		.amdhsa_enable_private_segment 0
		.amdhsa_system_sgpr_workgroup_id_x 1
		.amdhsa_system_sgpr_workgroup_id_y 0
		.amdhsa_system_sgpr_workgroup_id_z 0
		.amdhsa_system_sgpr_workgroup_info 0
		.amdhsa_system_vgpr_workitem_id 0
		.amdhsa_next_free_vgpr 37
		.amdhsa_next_free_sgpr 28
		.amdhsa_accum_offset 40
		.amdhsa_reserve_vcc 1
		.amdhsa_float_round_mode_32 0
		.amdhsa_float_round_mode_16_64 0
		.amdhsa_float_denorm_mode_32 3
		.amdhsa_float_denorm_mode_16_64 3
		.amdhsa_dx10_clamp 1
		.amdhsa_ieee_mode 1
		.amdhsa_fp16_overflow 0
		.amdhsa_tg_split 0
		.amdhsa_exception_fp_ieee_invalid_op 0
		.amdhsa_exception_fp_denorm_src 0
		.amdhsa_exception_fp_ieee_div_zero 0
		.amdhsa_exception_fp_ieee_overflow 0
		.amdhsa_exception_fp_ieee_underflow 0
		.amdhsa_exception_fp_ieee_inexact 0
		.amdhsa_exception_int_div_zero 0
	.end_amdhsa_kernel
	.text
.Lfunc_end0:
	.size	fft_rtc_fwd_len100_factors_10_10_wgs_60_tpt_10_halfLds_half_op_CI_CI_unitstride_sbrr_C2R_dirReg, .Lfunc_end0-fft_rtc_fwd_len100_factors_10_10_wgs_60_tpt_10_halfLds_half_op_CI_CI_unitstride_sbrr_C2R_dirReg
                                        ; -- End function
	.section	.AMDGPU.csdata,"",@progbits
; Kernel info:
; codeLenInByte = 5556
; NumSgprs: 34
; NumVgprs: 37
; NumAgprs: 0
; TotalNumVgprs: 37
; ScratchSize: 0
; MemoryBound: 0
; FloatMode: 240
; IeeeMode: 1
; LDSByteSize: 0 bytes/workgroup (compile time only)
; SGPRBlocks: 4
; VGPRBlocks: 4
; NumSGPRsForWavesPerEU: 34
; NumVGPRsForWavesPerEU: 37
; AccumOffset: 40
; Occupancy: 8
; WaveLimiterHint : 1
; COMPUTE_PGM_RSRC2:SCRATCH_EN: 0
; COMPUTE_PGM_RSRC2:USER_SGPR: 2
; COMPUTE_PGM_RSRC2:TRAP_HANDLER: 0
; COMPUTE_PGM_RSRC2:TGID_X_EN: 1
; COMPUTE_PGM_RSRC2:TGID_Y_EN: 0
; COMPUTE_PGM_RSRC2:TGID_Z_EN: 0
; COMPUTE_PGM_RSRC2:TIDIG_COMP_CNT: 0
; COMPUTE_PGM_RSRC3_GFX90A:ACCUM_OFFSET: 9
; COMPUTE_PGM_RSRC3_GFX90A:TG_SPLIT: 0
	.text
	.p2alignl 6, 3212836864
	.fill 256, 4, 3212836864
	.type	__hip_cuid_8ed5df7acbcdf7d7,@object ; @__hip_cuid_8ed5df7acbcdf7d7
	.section	.bss,"aw",@nobits
	.globl	__hip_cuid_8ed5df7acbcdf7d7
__hip_cuid_8ed5df7acbcdf7d7:
	.byte	0                               ; 0x0
	.size	__hip_cuid_8ed5df7acbcdf7d7, 1

	.ident	"AMD clang version 19.0.0git (https://github.com/RadeonOpenCompute/llvm-project roc-6.4.0 25133 c7fe45cf4b819c5991fe208aaa96edf142730f1d)"
	.section	".note.GNU-stack","",@progbits
	.addrsig
	.addrsig_sym __hip_cuid_8ed5df7acbcdf7d7
	.amdgpu_metadata
---
amdhsa.kernels:
  - .agpr_count:     0
    .args:
      - .actual_access:  read_only
        .address_space:  global
        .offset:         0
        .size:           8
        .value_kind:     global_buffer
      - .offset:         8
        .size:           8
        .value_kind:     by_value
      - .actual_access:  read_only
        .address_space:  global
        .offset:         16
        .size:           8
        .value_kind:     global_buffer
      - .actual_access:  read_only
        .address_space:  global
        .offset:         24
        .size:           8
        .value_kind:     global_buffer
      - .actual_access:  read_only
        .address_space:  global
        .offset:         32
        .size:           8
        .value_kind:     global_buffer
      - .offset:         40
        .size:           8
        .value_kind:     by_value
      - .actual_access:  read_only
        .address_space:  global
        .offset:         48
        .size:           8
        .value_kind:     global_buffer
      - .actual_access:  read_only
        .address_space:  global
        .offset:         56
        .size:           8
        .value_kind:     global_buffer
      - .offset:         64
        .size:           4
        .value_kind:     by_value
      - .actual_access:  read_only
        .address_space:  global
        .offset:         72
        .size:           8
        .value_kind:     global_buffer
      - .actual_access:  read_only
        .address_space:  global
        .offset:         80
        .size:           8
        .value_kind:     global_buffer
      - .actual_access:  read_only
        .address_space:  global
        .offset:         88
        .size:           8
        .value_kind:     global_buffer
      - .actual_access:  write_only
        .address_space:  global
        .offset:         96
        .size:           8
        .value_kind:     global_buffer
    .group_segment_fixed_size: 0
    .kernarg_segment_align: 8
    .kernarg_segment_size: 104
    .language:       OpenCL C
    .language_version:
      - 2
      - 0
    .max_flat_workgroup_size: 60
    .name:           fft_rtc_fwd_len100_factors_10_10_wgs_60_tpt_10_halfLds_half_op_CI_CI_unitstride_sbrr_C2R_dirReg
    .private_segment_fixed_size: 0
    .sgpr_count:     34
    .sgpr_spill_count: 0
    .symbol:         fft_rtc_fwd_len100_factors_10_10_wgs_60_tpt_10_halfLds_half_op_CI_CI_unitstride_sbrr_C2R_dirReg.kd
    .uniform_work_group_size: 1
    .uses_dynamic_stack: false
    .vgpr_count:     37
    .vgpr_spill_count: 0
    .wavefront_size: 64
amdhsa.target:   amdgcn-amd-amdhsa--gfx950
amdhsa.version:
  - 1
  - 2
...

	.end_amdgpu_metadata
